;; amdgpu-corpus repo=ROCm/rocFFT kind=compiled arch=gfx1201 opt=O3
	.text
	.amdgcn_target "amdgcn-amd-amdhsa--gfx1201"
	.amdhsa_code_object_version 6
	.protected	fft_rtc_fwd_len162_factors_6_3_3_3_wgs_243_tpt_27_halfLds_half_ip_CI_unitstride_sbrr_C2R_dirReg ; -- Begin function fft_rtc_fwd_len162_factors_6_3_3_3_wgs_243_tpt_27_halfLds_half_ip_CI_unitstride_sbrr_C2R_dirReg
	.globl	fft_rtc_fwd_len162_factors_6_3_3_3_wgs_243_tpt_27_halfLds_half_ip_CI_unitstride_sbrr_C2R_dirReg
	.p2align	8
	.type	fft_rtc_fwd_len162_factors_6_3_3_3_wgs_243_tpt_27_halfLds_half_ip_CI_unitstride_sbrr_C2R_dirReg,@function
fft_rtc_fwd_len162_factors_6_3_3_3_wgs_243_tpt_27_halfLds_half_ip_CI_unitstride_sbrr_C2R_dirReg: ; @fft_rtc_fwd_len162_factors_6_3_3_3_wgs_243_tpt_27_halfLds_half_ip_CI_unitstride_sbrr_C2R_dirReg
; %bb.0:
	s_load_b128 s[4:7], s[0:1], 0x0
	v_mul_u32_u24_e32 v1, 0x97c, v0
	s_clause 0x1
	s_load_b64 s[8:9], s[0:1], 0x50
	s_load_b64 s[10:11], s[0:1], 0x18
	v_mov_b32_e32 v5, 0
	v_lshrrev_b32_e32 v1, 16, v1
	s_delay_alu instid0(VALU_DEP_1) | instskip(SKIP_3) | instid1(VALU_DEP_1)
	v_mad_co_u64_u32 v[1:2], null, ttmp9, 9, v[1:2]
	v_mov_b32_e32 v3, 0
	v_mov_b32_e32 v4, 0
	;; [unrolled: 1-line block ×4, first 2 shown]
	s_wait_kmcnt 0x0
	v_cmp_lt_u64_e64 s2, s[6:7], 2
	v_mov_b32_e32 v9, v1
	s_delay_alu instid0(VALU_DEP_2)
	s_and_b32 vcc_lo, exec_lo, s2
	s_cbranch_vccnz .LBB0_8
; %bb.1:
	s_load_b64 s[2:3], s[0:1], 0x10
	v_dual_mov_b32 v3, 0 :: v_dual_mov_b32 v8, v2
	v_dual_mov_b32 v4, 0 :: v_dual_mov_b32 v7, v1
	s_add_nc_u64 s[12:13], s[10:11], 8
	s_mov_b64 s[14:15], 1
	s_wait_kmcnt 0x0
	s_add_nc_u64 s[16:17], s[2:3], 8
	s_mov_b32 s3, 0
.LBB0_2:                                ; =>This Inner Loop Header: Depth=1
	s_load_b64 s[18:19], s[16:17], 0x0
                                        ; implicit-def: $vgpr9_vgpr10
	s_mov_b32 s2, exec_lo
	s_wait_kmcnt 0x0
	v_or_b32_e32 v6, s19, v8
	s_delay_alu instid0(VALU_DEP_1)
	v_cmpx_ne_u64_e32 0, v[5:6]
	s_wait_alu 0xfffe
	s_xor_b32 s20, exec_lo, s2
	s_cbranch_execz .LBB0_4
; %bb.3:                                ;   in Loop: Header=BB0_2 Depth=1
	s_cvt_f32_u32 s2, s18
	s_cvt_f32_u32 s21, s19
	s_sub_nc_u64 s[24:25], 0, s[18:19]
	s_wait_alu 0xfffe
	s_delay_alu instid0(SALU_CYCLE_1) | instskip(SKIP_1) | instid1(SALU_CYCLE_2)
	s_fmamk_f32 s2, s21, 0x4f800000, s2
	s_wait_alu 0xfffe
	v_s_rcp_f32 s2, s2
	s_delay_alu instid0(TRANS32_DEP_1) | instskip(SKIP_1) | instid1(SALU_CYCLE_2)
	s_mul_f32 s2, s2, 0x5f7ffffc
	s_wait_alu 0xfffe
	s_mul_f32 s21, s2, 0x2f800000
	s_wait_alu 0xfffe
	s_delay_alu instid0(SALU_CYCLE_2) | instskip(SKIP_1) | instid1(SALU_CYCLE_2)
	s_trunc_f32 s21, s21
	s_wait_alu 0xfffe
	s_fmamk_f32 s2, s21, 0xcf800000, s2
	s_cvt_u32_f32 s23, s21
	s_wait_alu 0xfffe
	s_delay_alu instid0(SALU_CYCLE_1) | instskip(SKIP_1) | instid1(SALU_CYCLE_2)
	s_cvt_u32_f32 s22, s2
	s_wait_alu 0xfffe
	s_mul_u64 s[26:27], s[24:25], s[22:23]
	s_wait_alu 0xfffe
	s_mul_hi_u32 s29, s22, s27
	s_mul_i32 s28, s22, s27
	s_mul_hi_u32 s2, s22, s26
	s_mul_i32 s30, s23, s26
	s_wait_alu 0xfffe
	s_add_nc_u64 s[28:29], s[2:3], s[28:29]
	s_mul_hi_u32 s21, s23, s26
	s_mul_hi_u32 s31, s23, s27
	s_add_co_u32 s2, s28, s30
	s_wait_alu 0xfffe
	s_add_co_ci_u32 s2, s29, s21
	s_mul_i32 s26, s23, s27
	s_add_co_ci_u32 s27, s31, 0
	s_wait_alu 0xfffe
	s_add_nc_u64 s[26:27], s[2:3], s[26:27]
	s_wait_alu 0xfffe
	v_add_co_u32 v2, s2, s22, s26
	s_delay_alu instid0(VALU_DEP_1) | instskip(SKIP_1) | instid1(VALU_DEP_1)
	s_cmp_lg_u32 s2, 0
	s_add_co_ci_u32 s23, s23, s27
	v_readfirstlane_b32 s22, v2
	s_wait_alu 0xfffe
	s_delay_alu instid0(VALU_DEP_1)
	s_mul_u64 s[24:25], s[24:25], s[22:23]
	s_wait_alu 0xfffe
	s_mul_hi_u32 s27, s22, s25
	s_mul_i32 s26, s22, s25
	s_mul_hi_u32 s2, s22, s24
	s_mul_i32 s28, s23, s24
	s_wait_alu 0xfffe
	s_add_nc_u64 s[26:27], s[2:3], s[26:27]
	s_mul_hi_u32 s21, s23, s24
	s_mul_hi_u32 s22, s23, s25
	s_wait_alu 0xfffe
	s_add_co_u32 s2, s26, s28
	s_add_co_ci_u32 s2, s27, s21
	s_mul_i32 s24, s23, s25
	s_add_co_ci_u32 s25, s22, 0
	s_wait_alu 0xfffe
	s_add_nc_u64 s[24:25], s[2:3], s[24:25]
	s_wait_alu 0xfffe
	v_add_co_u32 v2, s2, v2, s24
	s_delay_alu instid0(VALU_DEP_1) | instskip(SKIP_1) | instid1(VALU_DEP_1)
	s_cmp_lg_u32 s2, 0
	s_add_co_ci_u32 s2, s23, s25
	v_mul_hi_u32 v6, v7, v2
	s_wait_alu 0xfffe
	v_mad_co_u64_u32 v[9:10], null, v7, s2, 0
	v_mad_co_u64_u32 v[11:12], null, v8, v2, 0
	;; [unrolled: 1-line block ×3, first 2 shown]
	s_delay_alu instid0(VALU_DEP_3) | instskip(SKIP_1) | instid1(VALU_DEP_4)
	v_add_co_u32 v2, vcc_lo, v6, v9
	s_wait_alu 0xfffd
	v_add_co_ci_u32_e32 v6, vcc_lo, 0, v10, vcc_lo
	s_delay_alu instid0(VALU_DEP_2) | instskip(SKIP_1) | instid1(VALU_DEP_2)
	v_add_co_u32 v2, vcc_lo, v2, v11
	s_wait_alu 0xfffd
	v_add_co_ci_u32_e32 v2, vcc_lo, v6, v12, vcc_lo
	s_wait_alu 0xfffd
	v_add_co_ci_u32_e32 v6, vcc_lo, 0, v14, vcc_lo
	s_delay_alu instid0(VALU_DEP_2) | instskip(SKIP_1) | instid1(VALU_DEP_2)
	v_add_co_u32 v2, vcc_lo, v2, v13
	s_wait_alu 0xfffd
	v_add_co_ci_u32_e32 v6, vcc_lo, 0, v6, vcc_lo
	s_delay_alu instid0(VALU_DEP_2) | instskip(SKIP_1) | instid1(VALU_DEP_3)
	v_mul_lo_u32 v11, s19, v2
	v_mad_co_u64_u32 v[9:10], null, s18, v2, 0
	v_mul_lo_u32 v12, s18, v6
	s_delay_alu instid0(VALU_DEP_2) | instskip(NEXT) | instid1(VALU_DEP_2)
	v_sub_co_u32 v9, vcc_lo, v7, v9
	v_add3_u32 v10, v10, v12, v11
	s_delay_alu instid0(VALU_DEP_1) | instskip(SKIP_1) | instid1(VALU_DEP_1)
	v_sub_nc_u32_e32 v11, v8, v10
	s_wait_alu 0xfffd
	v_subrev_co_ci_u32_e64 v11, s2, s19, v11, vcc_lo
	v_add_co_u32 v12, s2, v2, 2
	s_wait_alu 0xf1ff
	v_add_co_ci_u32_e64 v13, s2, 0, v6, s2
	v_sub_co_u32 v14, s2, v9, s18
	v_sub_co_ci_u32_e32 v10, vcc_lo, v8, v10, vcc_lo
	s_wait_alu 0xf1ff
	v_subrev_co_ci_u32_e64 v11, s2, 0, v11, s2
	s_delay_alu instid0(VALU_DEP_3) | instskip(NEXT) | instid1(VALU_DEP_3)
	v_cmp_le_u32_e32 vcc_lo, s18, v14
	v_cmp_eq_u32_e64 s2, s19, v10
	s_wait_alu 0xfffd
	v_cndmask_b32_e64 v14, 0, -1, vcc_lo
	v_cmp_le_u32_e32 vcc_lo, s19, v11
	s_wait_alu 0xfffd
	v_cndmask_b32_e64 v15, 0, -1, vcc_lo
	v_cmp_le_u32_e32 vcc_lo, s18, v9
	;; [unrolled: 3-line block ×3, first 2 shown]
	s_wait_alu 0xfffd
	v_cndmask_b32_e64 v16, 0, -1, vcc_lo
	v_cmp_eq_u32_e32 vcc_lo, s19, v11
	s_wait_alu 0xf1ff
	s_delay_alu instid0(VALU_DEP_2)
	v_cndmask_b32_e64 v9, v16, v9, s2
	s_wait_alu 0xfffd
	v_cndmask_b32_e32 v11, v15, v14, vcc_lo
	v_add_co_u32 v14, vcc_lo, v2, 1
	s_wait_alu 0xfffd
	v_add_co_ci_u32_e32 v15, vcc_lo, 0, v6, vcc_lo
	s_delay_alu instid0(VALU_DEP_3) | instskip(SKIP_1) | instid1(VALU_DEP_2)
	v_cmp_ne_u32_e32 vcc_lo, 0, v11
	s_wait_alu 0xfffd
	v_dual_cndmask_b32 v10, v15, v13 :: v_dual_cndmask_b32 v11, v14, v12
	v_cmp_ne_u32_e32 vcc_lo, 0, v9
	s_wait_alu 0xfffd
	s_delay_alu instid0(VALU_DEP_2) | instskip(NEXT) | instid1(VALU_DEP_3)
	v_cndmask_b32_e32 v10, v6, v10, vcc_lo
	v_cndmask_b32_e32 v9, v2, v11, vcc_lo
.LBB0_4:                                ;   in Loop: Header=BB0_2 Depth=1
	s_wait_alu 0xfffe
	s_and_not1_saveexec_b32 s2, s20
	s_cbranch_execz .LBB0_6
; %bb.5:                                ;   in Loop: Header=BB0_2 Depth=1
	v_cvt_f32_u32_e32 v2, s18
	s_sub_co_i32 s20, 0, s18
	s_delay_alu instid0(VALU_DEP_1) | instskip(NEXT) | instid1(TRANS32_DEP_1)
	v_rcp_iflag_f32_e32 v2, v2
	v_mul_f32_e32 v2, 0x4f7ffffe, v2
	s_delay_alu instid0(VALU_DEP_1) | instskip(SKIP_1) | instid1(VALU_DEP_1)
	v_cvt_u32_f32_e32 v2, v2
	s_wait_alu 0xfffe
	v_mul_lo_u32 v6, s20, v2
	s_delay_alu instid0(VALU_DEP_1) | instskip(NEXT) | instid1(VALU_DEP_1)
	v_mul_hi_u32 v6, v2, v6
	v_add_nc_u32_e32 v2, v2, v6
	s_delay_alu instid0(VALU_DEP_1) | instskip(NEXT) | instid1(VALU_DEP_1)
	v_mul_hi_u32 v2, v7, v2
	v_mul_lo_u32 v6, v2, s18
	v_add_nc_u32_e32 v9, 1, v2
	s_delay_alu instid0(VALU_DEP_2) | instskip(NEXT) | instid1(VALU_DEP_1)
	v_sub_nc_u32_e32 v6, v7, v6
	v_subrev_nc_u32_e32 v10, s18, v6
	v_cmp_le_u32_e32 vcc_lo, s18, v6
	s_wait_alu 0xfffd
	s_delay_alu instid0(VALU_DEP_2) | instskip(SKIP_2) | instid1(VALU_DEP_3)
	v_cndmask_b32_e32 v6, v6, v10, vcc_lo
	v_mov_b32_e32 v10, v5
	v_cndmask_b32_e32 v2, v2, v9, vcc_lo
	v_cmp_le_u32_e32 vcc_lo, s18, v6
	s_delay_alu instid0(VALU_DEP_2) | instskip(SKIP_1) | instid1(VALU_DEP_1)
	v_add_nc_u32_e32 v9, 1, v2
	s_wait_alu 0xfffd
	v_cndmask_b32_e32 v9, v2, v9, vcc_lo
.LBB0_6:                                ;   in Loop: Header=BB0_2 Depth=1
	s_wait_alu 0xfffe
	s_or_b32 exec_lo, exec_lo, s2
	s_load_b64 s[20:21], s[12:13], 0x0
	v_mul_lo_u32 v2, v10, s18
	v_mul_lo_u32 v6, v9, s19
	v_mad_co_u64_u32 v[11:12], null, v9, s18, 0
	s_add_nc_u64 s[14:15], s[14:15], 1
	s_add_nc_u64 s[12:13], s[12:13], 8
	s_wait_alu 0xfffe
	v_cmp_ge_u64_e64 s2, s[14:15], s[6:7]
	s_add_nc_u64 s[16:17], s[16:17], 8
	s_delay_alu instid0(VALU_DEP_2) | instskip(NEXT) | instid1(VALU_DEP_3)
	v_add3_u32 v2, v12, v6, v2
	v_sub_co_u32 v6, vcc_lo, v7, v11
	s_wait_alu 0xfffd
	s_delay_alu instid0(VALU_DEP_2) | instskip(SKIP_3) | instid1(VALU_DEP_2)
	v_sub_co_ci_u32_e32 v2, vcc_lo, v8, v2, vcc_lo
	s_and_b32 vcc_lo, exec_lo, s2
	s_wait_kmcnt 0x0
	v_mul_lo_u32 v7, s21, v6
	v_mul_lo_u32 v2, s20, v2
	v_mad_co_u64_u32 v[3:4], null, s20, v6, v[3:4]
	s_delay_alu instid0(VALU_DEP_1)
	v_add3_u32 v4, v7, v4, v2
	s_wait_alu 0xfffe
	s_cbranch_vccnz .LBB0_8
; %bb.7:                                ;   in Loop: Header=BB0_2 Depth=1
	v_dual_mov_b32 v7, v9 :: v_dual_mov_b32 v8, v10
	s_branch .LBB0_2
.LBB0_8:
	s_lshl_b64 s[2:3], s[6:7], 3
	v_mul_hi_u32 v2, 0x38e38e39, v1
	s_wait_alu 0xfffe
	s_add_nc_u64 s[2:3], s[10:11], s[2:3]
	s_load_b64 s[0:1], s[0:1], 0x20
	s_load_b64 s[2:3], s[2:3], 0x0
	v_mul_hi_u32 v5, 0x97b425f, v0
	s_delay_alu instid0(VALU_DEP_2) | instskip(NEXT) | instid1(VALU_DEP_1)
	v_lshrrev_b32_e32 v2, 1, v2
	v_lshl_add_u32 v6, v2, 3, v2
	s_delay_alu instid0(VALU_DEP_1)
	v_sub_nc_u32_e32 v1, v1, v6
	s_wait_kmcnt 0x0
	v_cmp_gt_u64_e32 vcc_lo, s[0:1], v[9:10]
	v_mul_lo_u32 v7, s2, v10
	v_mul_lo_u32 v8, s3, v9
	v_mad_co_u64_u32 v[2:3], null, s2, v9, v[3:4]
	v_mul_u32_u24_e32 v4, 27, v5
	v_mul_u32_u24_e32 v6, 0xa3, v1
	s_delay_alu instid0(VALU_DEP_2) | instskip(NEXT) | instid1(VALU_DEP_4)
	v_sub_nc_u32_e32 v0, v0, v4
	v_add3_u32 v3, v8, v3, v7
	s_delay_alu instid0(VALU_DEP_3) | instskip(NEXT) | instid1(VALU_DEP_2)
	v_lshlrev_b32_e32 v8, 2, v6
	v_lshlrev_b64_e32 v[2:3], 2, v[2:3]
	s_and_saveexec_b32 s1, vcc_lo
	s_cbranch_execz .LBB0_12
; %bb.9:
	v_mov_b32_e32 v1, 0
	s_delay_alu instid0(VALU_DEP_2) | instskip(SKIP_2) | instid1(VALU_DEP_3)
	v_add_co_u32 v4, s0, s8, v2
	s_wait_alu 0xf1ff
	v_add_co_ci_u32_e64 v5, s0, s9, v3, s0
	v_lshlrev_b64_e32 v[9:10], 2, v[0:1]
	v_lshlrev_b32_e32 v1, 2, v0
	s_mov_b32 s2, exec_lo
	s_delay_alu instid0(VALU_DEP_1) | instskip(NEXT) | instid1(VALU_DEP_3)
	v_add3_u32 v1, 0, v8, v1
	v_add_co_u32 v9, s0, v4, v9
	s_wait_alu 0xf1ff
	v_add_co_ci_u32_e64 v10, s0, v5, v10, s0
	s_clause 0x5
	global_load_b32 v7, v[9:10], off
	global_load_b32 v11, v[9:10], off offset:108
	global_load_b32 v12, v[9:10], off offset:216
	;; [unrolled: 1-line block ×5, first 2 shown]
	s_wait_loadcnt 0x4
	ds_store_2addr_b32 v1, v7, v11 offset1:27
	s_wait_loadcnt 0x2
	ds_store_2addr_b32 v1, v12, v13 offset0:54 offset1:81
	s_wait_loadcnt 0x0
	ds_store_2addr_b32 v1, v14, v9 offset0:108 offset1:135
	v_cmpx_eq_u32_e32 26, v0
	s_cbranch_execz .LBB0_11
; %bb.10:
	global_load_b32 v4, v[4:5], off offset:648
	v_mov_b32_e32 v0, 26
	s_wait_loadcnt 0x0
	ds_store_b32 v1, v4 offset:544
.LBB0_11:
	s_wait_alu 0xfffe
	s_or_b32 exec_lo, exec_lo, s2
.LBB0_12:
	s_wait_alu 0xfffe
	s_or_b32 exec_lo, exec_lo, s1
	v_lshl_add_u32 v6, v6, 2, 0
	v_lshlrev_b32_e32 v10, 2, v0
	global_wb scope:SCOPE_SE
	s_wait_dscnt 0x0
	s_barrier_signal -1
	s_barrier_wait -1
	global_inv scope:SCOPE_SE
	v_add_nc_u32_e32 v7, v6, v10
	v_sub_nc_u32_e32 v9, v6, v10
	s_mov_b32 s1, exec_lo
                                        ; implicit-def: $vgpr4_vgpr5
	ds_load_u16 v13, v7
	ds_load_u16 v14, v9 offset:648
	s_wait_dscnt 0x0
	v_add_f16_e32 v12, v14, v13
	v_sub_f16_e32 v11, v13, v14
	v_cmpx_ne_u32_e32 0, v0
	s_wait_alu 0xfffe
	s_xor_b32 s1, exec_lo, s1
	s_cbranch_execz .LBB0_14
; %bb.13:
	v_mov_b32_e32 v1, 0
	v_add_f16_e32 v12, v14, v13
	v_sub_f16_e32 v13, v13, v14
	s_delay_alu instid0(VALU_DEP_3) | instskip(NEXT) | instid1(VALU_DEP_1)
	v_lshlrev_b64_e32 v[4:5], 2, v[0:1]
	v_add_co_u32 v4, s0, s4, v4
	s_wait_alu 0xf1ff
	s_delay_alu instid0(VALU_DEP_2)
	v_add_co_ci_u32_e64 v5, s0, s5, v5, s0
	global_load_b32 v4, v[4:5], off offset:624
	ds_load_u16 v5, v9 offset:650
	ds_load_u16 v11, v7 offset:2
	s_wait_dscnt 0x0
	v_add_f16_e32 v14, v5, v11
	v_sub_f16_e32 v5, v11, v5
	s_wait_loadcnt 0x0
	v_lshrrev_b32_e32 v15, 16, v4
	s_delay_alu instid0(VALU_DEP_1) | instskip(NEXT) | instid1(VALU_DEP_3)
	v_fma_f16 v16, -v13, v15, v12
	v_fma_f16 v17, v14, v15, -v5
	v_fma_f16 v11, v14, v15, v5
	v_fma_f16 v12, v13, v15, v12
	s_delay_alu instid0(VALU_DEP_4) | instskip(NEXT) | instid1(VALU_DEP_4)
	v_fmac_f16_e32 v16, v4, v14
	v_fmac_f16_e32 v17, v13, v4
	s_delay_alu instid0(VALU_DEP_4) | instskip(NEXT) | instid1(VALU_DEP_4)
	v_fmac_f16_e32 v11, v13, v4
	v_fma_f16 v12, -v4, v14, v12
	v_dual_mov_b32 v5, v1 :: v_dual_mov_b32 v4, v0
	s_delay_alu instid0(VALU_DEP_4)
	v_pack_b32_f16 v13, v16, v17
	ds_store_b32 v9, v13 offset:648
.LBB0_14:
	s_wait_alu 0xfffe
	s_and_not1_saveexec_b32 s0, s1
	s_cbranch_execz .LBB0_16
; %bb.15:
	ds_load_b32 v1, v6 offset:324
	v_mov_b32_e32 v4, 0
	v_mov_b32_e32 v5, 0
	s_wait_dscnt 0x0
	v_pk_mul_f16 v1, 0xc0004000, v1
	ds_store_b32 v6, v1 offset:324
.LBB0_16:
	s_wait_alu 0xfffe
	s_or_b32 exec_lo, exec_lo, s0
	v_lshlrev_b64_e32 v[4:5], 2, v[4:5]
	s_add_nc_u64 s[0:1], s[4:5], 0x270
	v_add_nc_u32_e32 v19, 27, v0
	s_wait_alu 0xfffe
	s_delay_alu instid0(VALU_DEP_2)
	v_add_co_u32 v4, s0, s0, v4
	s_wait_alu 0xf1ff
	v_add_co_ci_u32_e64 v5, s0, s1, v5, s0
	v_cmp_gt_u32_e64 s0, 18, v0
	s_clause 0x1
	global_load_b32 v1, v[4:5], off offset:108
	global_load_b32 v4, v[4:5], off offset:216
	v_perm_b32 v5, v11, v12, 0x5040100
	ds_store_b32 v7, v5
	ds_load_b32 v5, v7 offset:108
	ds_load_b32 v11, v9 offset:540
	s_wait_dscnt 0x1
	v_lshrrev_b32_e32 v12, 16, v5
	s_wait_dscnt 0x0
	v_lshrrev_b32_e32 v13, 16, v11
	v_add_f16_e32 v14, v5, v11
	v_sub_f16_e32 v5, v5, v11
	s_delay_alu instid0(VALU_DEP_3) | instskip(SKIP_3) | instid1(VALU_DEP_1)
	v_add_f16_e32 v11, v13, v12
	v_sub_f16_e32 v12, v12, v13
	s_wait_loadcnt 0x1
	v_lshrrev_b32_e32 v15, 16, v1
	v_fma_f16 v13, v5, v15, v14
	s_delay_alu instid0(VALU_DEP_3) | instskip(SKIP_2) | instid1(VALU_DEP_4)
	v_fma_f16 v16, v11, v15, v12
	v_fma_f16 v14, -v5, v15, v14
	v_fma_f16 v12, v11, v15, -v12
	v_fma_f16 v13, -v1, v11, v13
	s_delay_alu instid0(VALU_DEP_4) | instskip(NEXT) | instid1(VALU_DEP_4)
	v_fmac_f16_e32 v16, v5, v1
	v_fmac_f16_e32 v14, v1, v11
	s_delay_alu instid0(VALU_DEP_4) | instskip(NEXT) | instid1(VALU_DEP_3)
	v_fmac_f16_e32 v12, v5, v1
	v_pack_b32_f16 v1, v13, v16
	s_wait_loadcnt 0x0
	v_lshrrev_b32_e32 v13, 16, v4
	s_delay_alu instid0(VALU_DEP_3)
	v_pack_b32_f16 v5, v14, v12
	ds_store_b32 v7, v1 offset:108
	ds_store_b32 v9, v5 offset:540
	ds_load_b32 v1, v7 offset:216
	ds_load_b32 v5, v9 offset:432
	s_wait_dscnt 0x1
	v_lshrrev_b32_e32 v11, 16, v1
	s_wait_dscnt 0x0
	v_lshrrev_b32_e32 v12, 16, v5
	v_add_f16_e32 v14, v1, v5
	v_sub_f16_e32 v1, v1, v5
	s_delay_alu instid0(VALU_DEP_3) | instskip(SKIP_1) | instid1(VALU_DEP_3)
	v_add_f16_e32 v5, v12, v11
	v_sub_f16_e32 v11, v11, v12
	v_fma_f16 v12, v1, v13, v14
	v_fma_f16 v14, -v1, v13, v14
	s_delay_alu instid0(VALU_DEP_3) | instskip(SKIP_1) | instid1(VALU_DEP_4)
	v_fma_f16 v15, v5, v13, v11
	v_fma_f16 v11, v5, v13, -v11
	v_fma_f16 v12, -v4, v5, v12
	s_delay_alu instid0(VALU_DEP_4)
	v_fmac_f16_e32 v14, v4, v5
	v_and_b32_e32 v13, 0xff, v19
	v_fmac_f16_e32 v15, v1, v4
	v_fmac_f16_e32 v11, v1, v4
	v_and_b32_e32 v4, 0xff, v0
	v_add3_u32 v1, 0, v10, v8
	s_delay_alu instid0(VALU_DEP_4) | instskip(NEXT) | instid1(VALU_DEP_4)
	v_pack_b32_f16 v5, v12, v15
	v_pack_b32_f16 v11, v14, v11
	s_delay_alu instid0(VALU_DEP_4)
	v_mul_lo_u16 v10, 0xab, v4
	ds_store_b32 v7, v5 offset:216
	ds_store_b32 v9, v11 offset:432
	global_wb scope:SCOPE_SE
	s_wait_dscnt 0x0
	s_barrier_signal -1
	s_barrier_wait -1
	global_inv scope:SCOPE_SE
	global_wb scope:SCOPE_SE
	s_barrier_signal -1
	s_barrier_wait -1
	global_inv scope:SCOPE_SE
	ds_load_2addr_b32 v[4:5], v1 offset0:81 offset1:108
	ds_load_b32 v11, v1 offset:540
	v_mul_lo_u16 v12, 0xab, v13
	v_lshrrev_b16 v14, 10, v10
	v_mad_u32_u24 v22, v0, 20, v1
	v_mul_lo_u16 v13, v13, 57
	s_delay_alu instid0(VALU_DEP_4)
	v_lshrrev_b16 v15, 10, v12
	ds_load_2addr_b32 v[9:10], v1 offset0:27 offset1:54
	ds_load_b32 v12, v7
	v_mul_lo_u16 v16, v14, 6
	global_wb scope:SCOPE_SE
	s_wait_dscnt 0x0
	s_barrier_signal -1
	v_mul_lo_u16 v17, v15, 6
	s_barrier_wait -1
	v_sub_nc_u16 v16, v0, v16
	global_inv scope:SCOPE_SE
	v_sub_nc_u16 v17, v19, v17
	v_and_b32_e32 v20, 0xff, v16
	v_pk_add_f16 v16, v4, v11
	v_pk_add_f16 v23, v4, v11 neg_lo:[0,1] neg_hi:[0,1]
	s_delay_alu instid0(VALU_DEP_4) | instskip(NEXT) | instid1(VALU_DEP_4)
	v_and_b32_e32 v21, 0xff, v17
	v_lshlrev_b32_e32 v17, 3, v20
	v_lshlrev_b32_e32 v20, 2, v20
	v_pk_fma_f16 v16, v16, 0.5, v9 op_sel_hi:[1,0,1] neg_lo:[1,0,0] neg_hi:[1,0,0]
	v_pk_add_f16 v4, v9, v4
	v_pk_add_f16 v9, v10, v5
	;; [unrolled: 1-line block ×3, first 2 shown]
	v_pk_add_f16 v10, v10, v5 neg_lo:[0,1] neg_hi:[0,1]
	v_pk_fma_f16 v25, 0x3aee, v23, v16 op_sel:[0,0,1] op_sel_hi:[0,1,0]
	v_pk_fma_f16 v16, 0x3aee, v23, v16 op_sel:[0,0,1] op_sel_hi:[0,1,0] neg_lo:[0,1,0] neg_hi:[0,1,0]
	v_pk_add_f16 v4, v4, v11
	v_pk_fma_f16 v9, v9, 0.5, v12 op_sel_hi:[1,0,1] neg_lo:[1,0,0] neg_hi:[1,0,0]
	v_pk_mul_f16 v10, 0x3aee, v10 op_sel_hi:[0,1]
	v_lshrrev_b32_e32 v12, 16, v25
	v_bfi_b32 v11, 0xffff, v25, v16
	v_pk_add_f16 v5, v24, v5
	v_mul_f16_e32 v27, 0x3aee, v16
	v_pk_add_f16 v26, v9, v10 op_sel:[0,1] op_sel_hi:[1,0] neg_lo:[0,1] neg_hi:[0,1]
	v_mul_f16_e32 v25, 0xbaee, v12
	v_pk_mul_f16 v24, v11, 0.5 op_sel_hi:[1,0]
	v_pk_add_f16 v9, v9, v10 op_sel:[0,1] op_sel_hi:[1,0]
	v_fmac_f16_e32 v27, 0.5, v12
	v_pk_add_f16 v23, v5, v4
	v_fmac_f16_e32 v25, 0.5, v16
	v_pk_fma_f16 v10, 0xbaee3aee, v11, v24 op_sel:[0,0,1] op_sel_hi:[1,1,0] neg_lo:[0,0,1] neg_hi:[0,0,1]
	v_lshrrev_b32_e32 v11, 16, v26
	v_lshrrev_b32_e32 v12, 16, v9
	v_bfi_b32 v28, 0xffff, v26, v9
	v_add_f16_e32 v29, v9, v27
	v_lshrrev_b32_e32 v16, 16, v10
	v_pack_b32_f16 v24, v25, v10
	v_add_f16_e32 v11, v11, v25
	v_sub_f16_e32 v9, v9, v27
	v_pk_add_f16 v4, v5, v4 neg_lo:[0,1] neg_hi:[0,1]
	v_sub_f16_e32 v12, v12, v16
	v_pk_add_f16 v16, v26, v24 op_sel:[1,0] op_sel_hi:[0,1] neg_lo:[0,1] neg_hi:[0,1]
	v_pk_add_f16 v5, v28, v10
	v_pack_b32_f16 v10, v29, v11
	v_lshlrev_b32_e32 v18, 3, v21
	v_lshrrev_b16 v24, 10, v13
	v_alignbit_b32 v11, v12, v16, 16
	v_pack_b32_f16 v9, v9, v16
	ds_store_2addr_b32 v22, v23, v10 offset1:1
	ds_store_2addr_b32 v22, v5, v4 offset0:2 offset1:3
	ds_store_2addr_b32 v22, v9, v11 offset0:4 offset1:5
	v_mov_b32_e32 v5, 0
	global_wb scope:SCOPE_SE
	s_wait_dscnt 0x0
	s_barrier_signal -1
	s_barrier_wait -1
	global_inv scope:SCOPE_SE
	s_clause 0x1
	global_load_b64 v[9:10], v17, s[4:5]
	global_load_b64 v[11:12], v18, s[4:5]
	v_subrev_nc_u32_e32 v4, 18, v0
	v_mul_lo_u16 v17, v24, 18
	v_and_b32_e32 v25, 0xffff, v14
	v_lshlrev_b32_e32 v21, 2, v21
	s_wait_alu 0xf1ff
	v_cndmask_b32_e64 v23, v4, v0, s0
	v_sub_nc_u16 v27, v19, v17
	v_mad_u32_u24 v25, 0x48, v25, 0
	s_delay_alu instid0(VALU_DEP_3) | instskip(NEXT) | instid1(VALU_DEP_3)
	v_lshlrev_b32_e32 v4, 1, v23
	v_and_b32_e32 v27, 0xff, v27
	s_delay_alu instid0(VALU_DEP_3) | instskip(NEXT) | instid1(VALU_DEP_3)
	v_add3_u32 v20, v25, v20, v8
	v_lshlrev_b64_e32 v[13:14], 2, v[4:5]
	v_and_b32_e32 v4, 0xffff, v15
	ds_load_b32 v26, v7
	ds_load_2addr_b32 v[15:16], v1 offset0:27 offset1:54
	ds_load_2addr_b32 v[17:18], v1 offset0:81 offset1:108
	ds_load_b32 v28, v1 offset:540
	v_lshlrev_b32_e32 v25, 3, v27
	v_mad_u32_u24 v4, 0x48, v4, 0
	v_add_co_u32 v13, s0, s4, v13
	s_wait_alu 0xf1ff
	v_add_co_ci_u32_e64 v14, s0, s5, v14, s0
	s_delay_alu instid0(VALU_DEP_3)
	v_add3_u32 v4, v4, v21, v8
	global_wb scope:SCOPE_SE
	s_wait_loadcnt_dscnt 0x0
	s_barrier_signal -1
	s_barrier_wait -1
	global_inv scope:SCOPE_SE
	v_cmp_lt_u32_e64 s0, 17, v0
	v_lshrrev_b32_e32 v21, 16, v26
	v_lshrrev_b32_e32 v30, 16, v16
	;; [unrolled: 1-line block ×10, first 2 shown]
	s_delay_alu instid0(VALU_DEP_4)
	v_mul_f16_e32 v38, v33, v30
	v_mul_f16_e32 v33, v33, v16
	;; [unrolled: 1-line block ×8, first 2 shown]
	v_fma_f16 v16, v9, v16, -v38
	v_fmac_f16_e32 v33, v9, v30
	v_fma_f16 v9, v10, v18, -v39
	v_fmac_f16_e32 v35, v10, v31
	;; [unrolled: 2-line block ×4, first 2 shown]
	v_add_f16_e32 v17, v16, v9
	v_add_f16_e32 v30, v33, v35
	v_sub_f16_e32 v18, v33, v35
	v_add_f16_e32 v28, v21, v33
	v_add_f16_e32 v32, v10, v11
	v_sub_f16_e32 v33, v36, v37
	v_add_f16_e32 v34, v29, v36
	v_add_f16_e32 v36, v36, v37
	;; [unrolled: 1-line block ×3, first 2 shown]
	v_sub_f16_e32 v16, v16, v9
	v_add_f16_e32 v31, v15, v10
	v_fmac_f16_e32 v26, -0.5, v17
	v_fmac_f16_e32 v21, -0.5, v30
	v_sub_f16_e32 v10, v10, v11
	v_fmac_f16_e32 v15, -0.5, v32
	v_fmac_f16_e32 v29, -0.5, v36
	v_add_f16_e32 v9, v12, v9
	v_add_f16_e32 v12, v28, v35
	;; [unrolled: 1-line block ×4, first 2 shown]
	v_fmamk_f16 v28, v18, 0x3aee, v26
	v_fmac_f16_e32 v26, 0xbaee, v18
	v_fmamk_f16 v18, v16, 0xbaee, v21
	v_fmac_f16_e32 v21, 0x3aee, v16
	v_fmamk_f16 v16, v33, 0x3aee, v15
	v_fmamk_f16 v30, v10, 0xbaee, v29
	v_fmac_f16_e32 v15, 0xbaee, v33
	v_fmac_f16_e32 v29, 0x3aee, v10
	v_pack_b32_f16 v9, v9, v12
	v_pack_b32_f16 v10, v11, v17
	;; [unrolled: 1-line block ×6, first 2 shown]
	ds_store_2addr_b32 v20, v9, v11 offset1:6
	ds_store_b32 v20, v12 offset:48
	ds_store_2addr_b32 v4, v10, v16 offset1:6
	ds_store_b32 v4, v15 offset:48
	global_wb scope:SCOPE_SE
	s_wait_dscnt 0x0
	s_barrier_signal -1
	s_barrier_wait -1
	global_inv scope:SCOPE_SE
	s_clause 0x1
	global_load_b64 v[9:10], v[13:14], off offset:48
	global_load_b64 v[11:12], v25, s[4:5] offset:48
	s_wait_alu 0xf1ff
	v_cndmask_b32_e64 v4, 0, 0xd8, s0
	ds_load_2addr_b32 v[15:16], v1 offset0:27 offset1:54
	v_lshlrev_b32_e32 v14, 2, v23
	v_and_b32_e32 v20, 0xffff, v24
	ds_load_2addr_b32 v[17:18], v1 offset0:81 offset1:108
	ds_load_b32 v23, v7
	ds_load_b32 v24, v1 offset:540
	v_add_nc_u32_e32 v13, 0, v4
	v_lshlrev_b32_e32 v4, 1, v0
	global_wb scope:SCOPE_SE
	s_wait_loadcnt_dscnt 0x0
	v_mad_u32_u24 v25, 0xd8, v20, 0
	s_barrier_signal -1
	v_add3_u32 v21, v13, v14, v8
	v_lshlrev_b64_e32 v[13:14], 2, v[4:5]
	v_lshlrev_b32_e32 v4, 1, v19
	s_barrier_wait -1
	global_inv scope:SCOPE_SE
	v_lshlrev_b64_e32 v[19:20], 2, v[4:5]
	v_lshlrev_b32_e32 v4, 2, v27
	v_add_co_u32 v13, s0, s4, v13
	s_wait_alu 0xf1ff
	v_add_co_ci_u32_e64 v14, s0, s5, v14, s0
	s_delay_alu instid0(VALU_DEP_3)
	v_add3_u32 v4, v25, v4, v8
	v_lshrrev_b32_e32 v25, 16, v16
	v_lshrrev_b32_e32 v26, 16, v18
	;; [unrolled: 1-line block ×6, first 2 shown]
	v_add_co_u32 v19, s0, s4, v19
	s_wait_alu 0xf1ff
	v_add_co_ci_u32_e64 v20, s0, s5, v20, s0
	v_lshrrev_b32_e32 v29, 16, v9
	v_lshrrev_b32_e32 v31, 16, v10
	;; [unrolled: 1-line block ×4, first 2 shown]
	s_delay_alu instid0(VALU_DEP_4)
	v_mul_f16_e32 v34, v29, v25
	v_mul_f16_e32 v29, v29, v16
	;; [unrolled: 1-line block ×8, first 2 shown]
	v_fma_f16 v16, v9, v16, -v34
	v_fmac_f16_e32 v29, v9, v25
	v_fma_f16 v9, v10, v18, -v35
	v_fmac_f16_e32 v31, v10, v26
	;; [unrolled: 2-line block ×4, first 2 shown]
	v_add_f16_e32 v12, v16, v23
	v_add_f16_e32 v17, v16, v9
	v_add_f16_e32 v25, v29, v31
	v_sub_f16_e32 v18, v29, v31
	v_add_f16_e32 v24, v29, v30
	v_add_f16_e32 v27, v10, v11
	v_sub_f16_e32 v28, v32, v33
	v_add_f16_e32 v29, v8, v32
	v_add_f16_e32 v32, v32, v33
	;; [unrolled: 3-line block ×3, first 2 shown]
	v_fma_f16 v12, -0.5, v17, v23
	v_fmac_f16_e32 v30, -0.5, v25
	v_sub_f16_e32 v10, v10, v11
	v_fmac_f16_e32 v15, -0.5, v27
	v_fmac_f16_e32 v8, -0.5, v32
	v_add_f16_e32 v17, v24, v31
	v_add_f16_e32 v11, v26, v11
	;; [unrolled: 1-line block ×3, first 2 shown]
	v_fmamk_f16 v24, v18, 0x3aee, v12
	v_fmac_f16_e32 v12, 0xbaee, v18
	v_fmamk_f16 v18, v16, 0xbaee, v30
	v_fmac_f16_e32 v30, 0x3aee, v16
	v_fmamk_f16 v16, v28, 0x3aee, v15
	v_fmamk_f16 v25, v10, 0xbaee, v8
	v_fmac_f16_e32 v15, 0xbaee, v28
	v_fmac_f16_e32 v8, 0x3aee, v10
	v_pack_b32_f16 v9, v9, v17
	v_pack_b32_f16 v10, v11, v23
	;; [unrolled: 1-line block ×6, first 2 shown]
	ds_store_2addr_b32 v21, v9, v11 offset1:18
	ds_store_b32 v21, v12 offset:144
	ds_store_2addr_b32 v4, v10, v16 offset1:18
	ds_store_b32 v4, v8 offset:144
	global_wb scope:SCOPE_SE
	s_wait_dscnt 0x0
	s_barrier_signal -1
	s_barrier_wait -1
	global_inv scope:SCOPE_SE
	s_clause 0x1
	global_load_b64 v[8:9], v[13:14], off offset:192
	global_load_b64 v[10:11], v[19:20], off offset:192
	ds_load_2addr_b32 v[12:13], v1 offset0:27 offset1:54
	ds_load_2addr_b32 v[14:15], v1 offset0:81 offset1:108
	ds_load_b32 v4, v1 offset:540
	ds_load_b32 v7, v7
	v_mad_i32_i24 v16, 0xffffffec, v0, v22
	global_wb scope:SCOPE_SE
	s_wait_loadcnt_dscnt 0x0
	s_barrier_signal -1
	s_barrier_wait -1
	global_inv scope:SCOPE_SE
	v_lshrrev_b32_e32 v18, 16, v13
	v_lshrrev_b32_e32 v19, 16, v15
	;; [unrolled: 1-line block ×10, first 2 shown]
	s_delay_alu instid0(VALU_DEP_4)
	v_mul_f16_e32 v27, v22, v18
	v_mul_f16_e32 v22, v22, v13
	;; [unrolled: 1-line block ×8, first 2 shown]
	v_fma_f16 v13, v8, v13, -v27
	v_fmac_f16_e32 v22, v8, v18
	v_fma_f16 v8, v9, v15, -v28
	v_fmac_f16_e32 v24, v9, v19
	;; [unrolled: 2-line block ×4, first 2 shown]
	v_add_f16_e32 v11, v13, v8
	v_add_f16_e32 v18, v22, v24
	;; [unrolled: 1-line block ×3, first 2 shown]
	v_sub_f16_e32 v14, v22, v24
	v_add_f16_e32 v15, v22, v23
	v_add_f16_e32 v19, v12, v9
	;; [unrolled: 1-line block ×3, first 2 shown]
	v_sub_f16_e32 v13, v13, v8
	v_fma_f16 v7, -0.5, v11, v7
	v_fmac_f16_e32 v23, -0.5, v18
	v_add_f16_e32 v20, v9, v4
	v_sub_f16_e32 v21, v25, v26
	v_add_f16_e32 v25, v25, v26
	v_sub_f16_e32 v9, v9, v4
	v_add_f16_e32 v8, v10, v8
	v_add_f16_e32 v10, v15, v24
	;; [unrolled: 1-line block ×4, first 2 shown]
	v_fmamk_f16 v15, v14, 0x3aee, v7
	v_fmac_f16_e32 v7, 0xbaee, v14
	v_fmamk_f16 v14, v13, 0xbaee, v23
	v_fmac_f16_e32 v23, 0x3aee, v13
	v_fmac_f16_e32 v12, -0.5, v20
	v_fmac_f16_e32 v17, -0.5, v25
	v_pack_b32_f16 v8, v8, v10
	v_pack_b32_f16 v4, v4, v11
	;; [unrolled: 1-line block ×4, first 2 shown]
	v_fmamk_f16 v13, v21, 0x3aee, v12
	v_fmamk_f16 v11, v9, 0xbaee, v17
	v_fmac_f16_e32 v12, 0xbaee, v21
	v_fmac_f16_e32 v17, 0x3aee, v9
	ds_store_2addr_b32 v1, v8, v4 offset1:27
	ds_store_2addr_b32 v1, v10, v7 offset0:54 offset1:108
	ds_store_b16 v16, v13 offset:324
	ds_store_b16 v16, v11 offset:326
	;; [unrolled: 1-line block ×4, first 2 shown]
	global_wb scope:SCOPE_SE
	s_wait_dscnt 0x0
	s_barrier_signal -1
	s_barrier_wait -1
	global_inv scope:SCOPE_SE
	s_and_saveexec_b32 s0, vcc_lo
	s_cbranch_execz .LBB0_18
; %bb.17:
	v_dual_mov_b32 v1, v5 :: v_dual_add_nc_u32 v4, 27, v0
	v_add_co_u32 v20, vcc_lo, s8, v2
	v_lshl_add_u32 v16, v0, 2, v6
	s_delay_alu instid0(VALU_DEP_3) | instskip(NEXT) | instid1(VALU_DEP_4)
	v_lshlrev_b64_e32 v[8:9], 2, v[0:1]
	v_lshlrev_b64_e32 v[1:2], 2, v[4:5]
	v_add_nc_u32_e32 v4, 54, v0
	s_wait_alu 0xfffd
	v_add_co_ci_u32_e32 v21, vcc_lo, s9, v3, vcc_lo
	ds_load_2addr_b32 v[6:7], v16 offset1:27
	ds_load_2addr_b32 v[12:13], v16 offset0:54 offset1:81
	v_lshlrev_b64_e32 v[10:11], 2, v[4:5]
	v_add_nc_u32_e32 v4, 0x51, v0
	v_add_co_u32 v8, vcc_lo, v20, v8
	ds_load_2addr_b32 v[16:17], v16 offset0:108 offset1:135
	s_wait_alu 0xfffd
	v_add_co_ci_u32_e32 v9, vcc_lo, v21, v9, vcc_lo
	v_lshlrev_b64_e32 v[14:15], 2, v[4:5]
	v_add_nc_u32_e32 v4, 0x6c, v0
	v_add_co_u32 v1, vcc_lo, v20, v1
	s_wait_alu 0xfffd
	v_add_co_ci_u32_e32 v2, vcc_lo, v21, v2, vcc_lo
	s_delay_alu instid0(VALU_DEP_3)
	v_lshlrev_b64_e32 v[18:19], 2, v[4:5]
	v_add_nc_u32_e32 v4, 0x87, v0
	v_add_co_u32 v10, vcc_lo, v20, v10
	s_wait_alu 0xfffd
	v_add_co_ci_u32_e32 v11, vcc_lo, v21, v11, vcc_lo
	v_add_co_u32 v14, vcc_lo, v20, v14
	v_lshlrev_b64_e32 v[3:4], 2, v[4:5]
	s_wait_alu 0xfffd
	v_add_co_ci_u32_e32 v15, vcc_lo, v21, v15, vcc_lo
	v_add_co_u32 v18, vcc_lo, v20, v18
	s_wait_alu 0xfffd
	v_add_co_ci_u32_e32 v19, vcc_lo, v21, v19, vcc_lo
	v_add_co_u32 v3, vcc_lo, v20, v3
	s_wait_alu 0xfffd
	v_add_co_ci_u32_e32 v4, vcc_lo, v21, v4, vcc_lo
	s_wait_dscnt 0x2
	s_clause 0x1
	global_store_b32 v[8:9], v6, off
	global_store_b32 v[1:2], v7, off
	s_wait_dscnt 0x1
	s_clause 0x1
	global_store_b32 v[10:11], v12, off
	global_store_b32 v[14:15], v13, off
	;; [unrolled: 4-line block ×3, first 2 shown]
.LBB0_18:
	s_nop 0
	s_sendmsg sendmsg(MSG_DEALLOC_VGPRS)
	s_endpgm
	.section	.rodata,"a",@progbits
	.p2align	6, 0x0
	.amdhsa_kernel fft_rtc_fwd_len162_factors_6_3_3_3_wgs_243_tpt_27_halfLds_half_ip_CI_unitstride_sbrr_C2R_dirReg
		.amdhsa_group_segment_fixed_size 0
		.amdhsa_private_segment_fixed_size 0
		.amdhsa_kernarg_size 88
		.amdhsa_user_sgpr_count 2
		.amdhsa_user_sgpr_dispatch_ptr 0
		.amdhsa_user_sgpr_queue_ptr 0
		.amdhsa_user_sgpr_kernarg_segment_ptr 1
		.amdhsa_user_sgpr_dispatch_id 0
		.amdhsa_user_sgpr_private_segment_size 0
		.amdhsa_wavefront_size32 1
		.amdhsa_uses_dynamic_stack 0
		.amdhsa_enable_private_segment 0
		.amdhsa_system_sgpr_workgroup_id_x 1
		.amdhsa_system_sgpr_workgroup_id_y 0
		.amdhsa_system_sgpr_workgroup_id_z 0
		.amdhsa_system_sgpr_workgroup_info 0
		.amdhsa_system_vgpr_workitem_id 0
		.amdhsa_next_free_vgpr 42
		.amdhsa_next_free_sgpr 32
		.amdhsa_reserve_vcc 1
		.amdhsa_float_round_mode_32 0
		.amdhsa_float_round_mode_16_64 0
		.amdhsa_float_denorm_mode_32 3
		.amdhsa_float_denorm_mode_16_64 3
		.amdhsa_fp16_overflow 0
		.amdhsa_workgroup_processor_mode 1
		.amdhsa_memory_ordered 1
		.amdhsa_forward_progress 0
		.amdhsa_round_robin_scheduling 0
		.amdhsa_exception_fp_ieee_invalid_op 0
		.amdhsa_exception_fp_denorm_src 0
		.amdhsa_exception_fp_ieee_div_zero 0
		.amdhsa_exception_fp_ieee_overflow 0
		.amdhsa_exception_fp_ieee_underflow 0
		.amdhsa_exception_fp_ieee_inexact 0
		.amdhsa_exception_int_div_zero 0
	.end_amdhsa_kernel
	.text
.Lfunc_end0:
	.size	fft_rtc_fwd_len162_factors_6_3_3_3_wgs_243_tpt_27_halfLds_half_ip_CI_unitstride_sbrr_C2R_dirReg, .Lfunc_end0-fft_rtc_fwd_len162_factors_6_3_3_3_wgs_243_tpt_27_halfLds_half_ip_CI_unitstride_sbrr_C2R_dirReg
                                        ; -- End function
	.section	.AMDGPU.csdata,"",@progbits
; Kernel info:
; codeLenInByte = 5052
; NumSgprs: 34
; NumVgprs: 42
; ScratchSize: 0
; MemoryBound: 0
; FloatMode: 240
; IeeeMode: 1
; LDSByteSize: 0 bytes/workgroup (compile time only)
; SGPRBlocks: 4
; VGPRBlocks: 5
; NumSGPRsForWavesPerEU: 34
; NumVGPRsForWavesPerEU: 42
; Occupancy: 16
; WaveLimiterHint : 1
; COMPUTE_PGM_RSRC2:SCRATCH_EN: 0
; COMPUTE_PGM_RSRC2:USER_SGPR: 2
; COMPUTE_PGM_RSRC2:TRAP_HANDLER: 0
; COMPUTE_PGM_RSRC2:TGID_X_EN: 1
; COMPUTE_PGM_RSRC2:TGID_Y_EN: 0
; COMPUTE_PGM_RSRC2:TGID_Z_EN: 0
; COMPUTE_PGM_RSRC2:TIDIG_COMP_CNT: 0
	.text
	.p2alignl 7, 3214868480
	.fill 96, 4, 3214868480
	.type	__hip_cuid_3c6628289d335bbd,@object ; @__hip_cuid_3c6628289d335bbd
	.section	.bss,"aw",@nobits
	.globl	__hip_cuid_3c6628289d335bbd
__hip_cuid_3c6628289d335bbd:
	.byte	0                               ; 0x0
	.size	__hip_cuid_3c6628289d335bbd, 1

	.ident	"AMD clang version 19.0.0git (https://github.com/RadeonOpenCompute/llvm-project roc-6.4.0 25133 c7fe45cf4b819c5991fe208aaa96edf142730f1d)"
	.section	".note.GNU-stack","",@progbits
	.addrsig
	.addrsig_sym __hip_cuid_3c6628289d335bbd
	.amdgpu_metadata
---
amdhsa.kernels:
  - .args:
      - .actual_access:  read_only
        .address_space:  global
        .offset:         0
        .size:           8
        .value_kind:     global_buffer
      - .offset:         8
        .size:           8
        .value_kind:     by_value
      - .actual_access:  read_only
        .address_space:  global
        .offset:         16
        .size:           8
        .value_kind:     global_buffer
      - .actual_access:  read_only
        .address_space:  global
        .offset:         24
        .size:           8
        .value_kind:     global_buffer
      - .offset:         32
        .size:           8
        .value_kind:     by_value
      - .actual_access:  read_only
        .address_space:  global
        .offset:         40
        .size:           8
        .value_kind:     global_buffer
      - .actual_access:  read_only
        .address_space:  global
        .offset:         48
        .size:           8
        .value_kind:     global_buffer
      - .offset:         56
        .size:           4
        .value_kind:     by_value
      - .actual_access:  read_only
        .address_space:  global
        .offset:         64
        .size:           8
        .value_kind:     global_buffer
      - .actual_access:  read_only
        .address_space:  global
        .offset:         72
        .size:           8
        .value_kind:     global_buffer
      - .address_space:  global
        .offset:         80
        .size:           8
        .value_kind:     global_buffer
    .group_segment_fixed_size: 0
    .kernarg_segment_align: 8
    .kernarg_segment_size: 88
    .language:       OpenCL C
    .language_version:
      - 2
      - 0
    .max_flat_workgroup_size: 243
    .name:           fft_rtc_fwd_len162_factors_6_3_3_3_wgs_243_tpt_27_halfLds_half_ip_CI_unitstride_sbrr_C2R_dirReg
    .private_segment_fixed_size: 0
    .sgpr_count:     34
    .sgpr_spill_count: 0
    .symbol:         fft_rtc_fwd_len162_factors_6_3_3_3_wgs_243_tpt_27_halfLds_half_ip_CI_unitstride_sbrr_C2R_dirReg.kd
    .uniform_work_group_size: 1
    .uses_dynamic_stack: false
    .vgpr_count:     42
    .vgpr_spill_count: 0
    .wavefront_size: 32
    .workgroup_processor_mode: 1
amdhsa.target:   amdgcn-amd-amdhsa--gfx1201
amdhsa.version:
  - 1
  - 2
...

	.end_amdgpu_metadata
